;; amdgpu-corpus repo=ROCm/rocFFT kind=compiled arch=gfx950 opt=O3
	.text
	.amdgcn_target "amdgcn-amd-amdhsa--gfx950"
	.amdhsa_code_object_version 6
	.protected	fft_rtc_fwd_len528_factors_4_4_3_11_wgs_48_tpt_48_halfLds_dp_ip_CI_unitstride_sbrr_C2R_dirReg ; -- Begin function fft_rtc_fwd_len528_factors_4_4_3_11_wgs_48_tpt_48_halfLds_dp_ip_CI_unitstride_sbrr_C2R_dirReg
	.globl	fft_rtc_fwd_len528_factors_4_4_3_11_wgs_48_tpt_48_halfLds_dp_ip_CI_unitstride_sbrr_C2R_dirReg
	.p2align	8
	.type	fft_rtc_fwd_len528_factors_4_4_3_11_wgs_48_tpt_48_halfLds_dp_ip_CI_unitstride_sbrr_C2R_dirReg,@function
fft_rtc_fwd_len528_factors_4_4_3_11_wgs_48_tpt_48_halfLds_dp_ip_CI_unitstride_sbrr_C2R_dirReg: ; @fft_rtc_fwd_len528_factors_4_4_3_11_wgs_48_tpt_48_halfLds_dp_ip_CI_unitstride_sbrr_C2R_dirReg
; %bb.0:
	s_load_dwordx2 s[8:9], s[0:1], 0x50
	s_load_dwordx4 s[4:7], s[0:1], 0x0
	s_load_dwordx2 s[10:11], s[0:1], 0x18
	v_mul_u32_u24_e32 v1, 0x556, v0
	v_add_u32_sdwa v6, s2, v1 dst_sel:DWORD dst_unused:UNUSED_PAD src0_sel:DWORD src1_sel:WORD_1
	v_mov_b32_e32 v4, 0
	s_waitcnt lgkmcnt(0)
	v_cmp_lt_u64_e64 s[2:3], s[6:7], 2
	v_mov_b32_e32 v7, v4
	s_and_b64 vcc, exec, s[2:3]
	v_mov_b64_e32 v[2:3], 0
	s_cbranch_vccnz .LBB0_8
; %bb.1:
	s_load_dwordx2 s[2:3], s[0:1], 0x10
	s_add_u32 s12, s10, 8
	s_addc_u32 s13, s11, 0
	s_mov_b64 s[14:15], 1
	v_mov_b64_e32 v[2:3], 0
	s_waitcnt lgkmcnt(0)
	s_add_u32 s16, s2, 8
	s_addc_u32 s17, s3, 0
.LBB0_2:                                ; =>This Inner Loop Header: Depth=1
	s_load_dwordx2 s[18:19], s[16:17], 0x0
                                        ; implicit-def: $vgpr8_vgpr9
	s_waitcnt lgkmcnt(0)
	v_or_b32_e32 v5, s19, v7
	v_cmp_ne_u64_e32 vcc, 0, v[4:5]
	s_and_saveexec_b64 s[2:3], vcc
	s_xor_b64 s[20:21], exec, s[2:3]
	s_cbranch_execz .LBB0_4
; %bb.3:                                ;   in Loop: Header=BB0_2 Depth=1
	v_cvt_f32_u32_e32 v1, s18
	v_cvt_f32_u32_e32 v5, s19
	s_sub_u32 s2, 0, s18
	s_subb_u32 s3, 0, s19
	v_fmac_f32_e32 v1, 0x4f800000, v5
	v_rcp_f32_e32 v1, v1
	s_nop 0
	v_mul_f32_e32 v1, 0x5f7ffffc, v1
	v_mul_f32_e32 v5, 0x2f800000, v1
	v_trunc_f32_e32 v5, v5
	v_fmac_f32_e32 v1, 0xcf800000, v5
	v_cvt_u32_f32_e32 v5, v5
	v_cvt_u32_f32_e32 v1, v1
	v_mul_lo_u32 v8, s2, v5
	v_mul_hi_u32 v10, s2, v1
	v_mul_lo_u32 v9, s3, v1
	v_add_u32_e32 v10, v10, v8
	v_mul_lo_u32 v12, s2, v1
	v_add_u32_e32 v13, v10, v9
	v_mul_hi_u32 v8, v1, v12
	v_mul_hi_u32 v11, v1, v13
	v_mul_lo_u32 v10, v1, v13
	v_mov_b32_e32 v9, v4
	v_lshl_add_u64 v[8:9], v[8:9], 0, v[10:11]
	v_mul_hi_u32 v11, v5, v12
	v_mul_lo_u32 v12, v5, v12
	v_add_co_u32_e32 v8, vcc, v8, v12
	v_mul_hi_u32 v10, v5, v13
	s_nop 0
	v_addc_co_u32_e32 v8, vcc, v9, v11, vcc
	v_mov_b32_e32 v9, v4
	s_nop 0
	v_addc_co_u32_e32 v11, vcc, 0, v10, vcc
	v_mul_lo_u32 v10, v5, v13
	v_lshl_add_u64 v[8:9], v[8:9], 0, v[10:11]
	v_add_co_u32_e32 v1, vcc, v1, v8
	v_mul_lo_u32 v10, s2, v1
	s_nop 0
	v_addc_co_u32_e32 v5, vcc, v5, v9, vcc
	v_mul_lo_u32 v8, s2, v5
	v_mul_hi_u32 v9, s2, v1
	v_add_u32_e32 v8, v9, v8
	v_mul_lo_u32 v9, s3, v1
	v_add_u32_e32 v12, v8, v9
	v_mul_hi_u32 v14, v5, v10
	v_mul_lo_u32 v15, v5, v10
	v_mul_hi_u32 v9, v1, v12
	v_mul_lo_u32 v8, v1, v12
	v_mul_hi_u32 v10, v1, v10
	v_mov_b32_e32 v11, v4
	v_lshl_add_u64 v[8:9], v[10:11], 0, v[8:9]
	v_add_co_u32_e32 v8, vcc, v8, v15
	v_mul_hi_u32 v13, v5, v12
	s_nop 0
	v_addc_co_u32_e32 v8, vcc, v9, v14, vcc
	v_mul_lo_u32 v10, v5, v12
	s_nop 0
	v_addc_co_u32_e32 v11, vcc, 0, v13, vcc
	v_mov_b32_e32 v9, v4
	v_lshl_add_u64 v[8:9], v[8:9], 0, v[10:11]
	v_add_co_u32_e32 v1, vcc, v1, v8
	v_mul_hi_u32 v10, v6, v1
	s_nop 0
	v_addc_co_u32_e32 v5, vcc, v5, v9, vcc
	v_mad_u64_u32 v[8:9], s[2:3], v6, v5, 0
	v_mov_b32_e32 v11, v4
	v_lshl_add_u64 v[8:9], v[10:11], 0, v[8:9]
	v_mad_u64_u32 v[12:13], s[2:3], v7, v1, 0
	v_add_co_u32_e32 v1, vcc, v8, v12
	v_mad_u64_u32 v[10:11], s[2:3], v7, v5, 0
	s_nop 0
	v_addc_co_u32_e32 v8, vcc, v9, v13, vcc
	v_mov_b32_e32 v9, v4
	s_nop 0
	v_addc_co_u32_e32 v11, vcc, 0, v11, vcc
	v_lshl_add_u64 v[8:9], v[8:9], 0, v[10:11]
	v_mul_lo_u32 v1, s19, v8
	v_mul_lo_u32 v5, s18, v9
	v_mad_u64_u32 v[10:11], s[2:3], s18, v8, 0
	v_add3_u32 v1, v11, v5, v1
	v_sub_u32_e32 v5, v7, v1
	v_mov_b32_e32 v11, s19
	v_sub_co_u32_e32 v14, vcc, v6, v10
	v_lshl_add_u64 v[12:13], v[8:9], 0, 1
	s_nop 0
	v_subb_co_u32_e64 v5, s[2:3], v5, v11, vcc
	v_subrev_co_u32_e64 v10, s[2:3], s18, v14
	v_subb_co_u32_e32 v1, vcc, v7, v1, vcc
	s_nop 0
	v_subbrev_co_u32_e64 v5, s[2:3], 0, v5, s[2:3]
	v_cmp_le_u32_e64 s[2:3], s19, v5
	v_cmp_le_u32_e32 vcc, s19, v1
	s_nop 0
	v_cndmask_b32_e64 v11, 0, -1, s[2:3]
	v_cmp_le_u32_e64 s[2:3], s18, v10
	s_nop 1
	v_cndmask_b32_e64 v10, 0, -1, s[2:3]
	v_cmp_eq_u32_e64 s[2:3], s19, v5
	s_nop 1
	v_cndmask_b32_e64 v5, v11, v10, s[2:3]
	v_lshl_add_u64 v[10:11], v[8:9], 0, 2
	v_cmp_ne_u32_e64 s[2:3], 0, v5
	s_nop 1
	v_cndmask_b32_e64 v5, v13, v11, s[2:3]
	v_cndmask_b32_e64 v11, 0, -1, vcc
	v_cmp_le_u32_e32 vcc, s18, v14
	s_nop 1
	v_cndmask_b32_e64 v13, 0, -1, vcc
	v_cmp_eq_u32_e32 vcc, s19, v1
	s_nop 1
	v_cndmask_b32_e32 v1, v11, v13, vcc
	v_cmp_ne_u32_e32 vcc, 0, v1
	v_cndmask_b32_e64 v1, v12, v10, s[2:3]
	s_nop 0
	v_cndmask_b32_e32 v9, v9, v5, vcc
	v_cndmask_b32_e32 v8, v8, v1, vcc
.LBB0_4:                                ;   in Loop: Header=BB0_2 Depth=1
	s_andn2_saveexec_b64 s[2:3], s[20:21]
	s_cbranch_execz .LBB0_6
; %bb.5:                                ;   in Loop: Header=BB0_2 Depth=1
	v_cvt_f32_u32_e32 v1, s18
	s_sub_i32 s20, 0, s18
	v_rcp_iflag_f32_e32 v1, v1
	s_nop 0
	v_mul_f32_e32 v1, 0x4f7ffffe, v1
	v_cvt_u32_f32_e32 v1, v1
	v_mul_lo_u32 v5, s20, v1
	v_mul_hi_u32 v5, v1, v5
	v_add_u32_e32 v1, v1, v5
	v_mul_hi_u32 v1, v6, v1
	v_mul_lo_u32 v5, v1, s18
	v_sub_u32_e32 v5, v6, v5
	v_add_u32_e32 v8, 1, v1
	v_subrev_u32_e32 v9, s18, v5
	v_cmp_le_u32_e32 vcc, s18, v5
	s_nop 1
	v_cndmask_b32_e32 v5, v5, v9, vcc
	v_cndmask_b32_e32 v1, v1, v8, vcc
	v_add_u32_e32 v8, 1, v1
	v_cmp_le_u32_e32 vcc, s18, v5
	v_mov_b32_e32 v9, v4
	s_nop 0
	v_cndmask_b32_e32 v8, v1, v8, vcc
.LBB0_6:                                ;   in Loop: Header=BB0_2 Depth=1
	s_or_b64 exec, exec, s[2:3]
	v_mad_u64_u32 v[10:11], s[2:3], v8, s18, 0
	s_load_dwordx2 s[2:3], s[12:13], 0x0
	v_mul_lo_u32 v1, v9, s18
	v_mul_lo_u32 v5, v8, s19
	v_add3_u32 v1, v11, v5, v1
	v_sub_co_u32_e32 v5, vcc, v6, v10
	s_add_u32 s14, s14, 1
	s_nop 0
	v_subb_co_u32_e32 v1, vcc, v7, v1, vcc
	s_addc_u32 s15, s15, 0
	s_waitcnt lgkmcnt(0)
	v_mul_lo_u32 v1, s2, v1
	v_mul_lo_u32 v6, s3, v5
	v_mad_u64_u32 v[2:3], s[2:3], s2, v5, v[2:3]
	s_add_u32 s12, s12, 8
	v_add3_u32 v3, v6, v3, v1
	s_addc_u32 s13, s13, 0
	v_mov_b64_e32 v[6:7], s[6:7]
	s_add_u32 s16, s16, 8
	v_cmp_ge_u64_e32 vcc, s[14:15], v[6:7]
	s_addc_u32 s17, s17, 0
	s_cbranch_vccnz .LBB0_9
; %bb.7:                                ;   in Loop: Header=BB0_2 Depth=1
	v_mov_b64_e32 v[6:7], v[8:9]
	s_branch .LBB0_2
.LBB0_8:
	v_mov_b64_e32 v[8:9], v[6:7]
.LBB0_9:
	s_lshl_b64 s[2:3], s[6:7], 3
	s_add_u32 s2, s10, s2
	s_addc_u32 s3, s11, s3
	s_load_dwordx2 s[6:7], s[2:3], 0x0
	s_load_dwordx2 s[10:11], s[0:1], 0x20
	s_mov_b32 s2, 0x5555556
	s_waitcnt lgkmcnt(0)
	v_mul_lo_u32 v1, s6, v9
	v_mul_lo_u32 v4, s7, v8
	v_mad_u64_u32 v[2:3], s[0:1], s6, v8, v[2:3]
	v_add3_u32 v3, v4, v3, v1
	v_mul_hi_u32 v1, v0, s2
	v_mul_u32_u24_e32 v1, 48, v1
	v_cmp_gt_u64_e64 s[0:1], s[10:11], v[8:9]
	v_sub_u32_e32 v56, v0, v1
	v_lshl_add_u64 v[58:59], v[2:3], 4, s[8:9]
	s_and_saveexec_b64 s[2:3], s[0:1]
	s_cbranch_execz .LBB0_13
; %bb.10:
	v_mov_b32_e32 v57, 0
	v_lshl_add_u64 v[24:25], v[56:57], 4, v[58:59]
	s_movk_i32 s6, 0x1000
	v_add_co_u32_e32 v44, vcc, s6, v24
	v_or_b32_e32 v32, 0x180, v56
	v_mov_b32_e32 v33, v57
	v_addc_co_u32_e32 v45, vcc, 0, v25, vcc
	v_lshl_add_u64 v[46:47], v[32:33], 4, v[58:59]
	global_load_dwordx4 v[0:3], v[24:25], off
	global_load_dwordx4 v[4:7], v[24:25], off offset:768
	global_load_dwordx4 v[8:11], v[24:25], off offset:1536
	;; [unrolled: 1-line block ×5, first 2 shown]
	s_nop 0
	global_load_dwordx4 v[24:27], v[44:45], off offset:512
	global_load_dwordx4 v[28:31], v[44:45], off offset:1280
	global_load_dwordx4 v[32:35], v[46:47], off
	global_load_dwordx4 v[36:39], v[44:45], off offset:2816
	global_load_dwordx4 v[40:43], v[44:45], off offset:3584
	v_lshl_add_u32 v44, v56, 4, 0
	v_cmp_eq_u32_e32 vcc, 47, v56
	s_waitcnt vmcnt(10)
	ds_write_b128 v44, v[0:3]
	s_waitcnt vmcnt(9)
	ds_write_b128 v44, v[4:7] offset:768
	s_waitcnt vmcnt(8)
	ds_write_b128 v44, v[8:11] offset:1536
	;; [unrolled: 2-line block ×10, first 2 shown]
	s_and_saveexec_b64 s[6:7], vcc
	s_cbranch_execz .LBB0_12
; %bb.11:
	v_add_co_u32_e32 v0, vcc, 0x2000, v58
	v_mov_b32_e32 v56, 47
	s_nop 0
	v_addc_co_u32_e32 v1, vcc, 0, v59, vcc
	global_load_dwordx4 v[0:3], v[0:1], off offset:256
	s_waitcnt vmcnt(0)
	ds_write_b128 v57, v[0:3] offset:8448
.LBB0_12:
	s_or_b64 exec, exec, s[6:7]
.LBB0_13:
	s_or_b64 exec, exec, s[2:3]
	v_lshlrev_b32_e32 v0, 4, v56
	v_add_u32_e32 v60, 0, v0
	s_waitcnt lgkmcnt(0)
	; wave barrier
	s_waitcnt lgkmcnt(0)
	v_sub_u32_e32 v6, 0, v0
	ds_read_b64 v[2:3], v60
	ds_read_b64 v[4:5], v6 offset:8448
	s_add_u32 s2, s4, 0x20c0
	s_addc_u32 s3, s5, 0
	v_cmp_ne_u32_e32 vcc, 0, v56
	s_waitcnt lgkmcnt(0)
	v_add_f64 v[0:1], v[2:3], v[4:5]
	v_add_f64 v[2:3], v[2:3], -v[4:5]
                                        ; implicit-def: $vgpr4_vgpr5
	s_and_saveexec_b64 s[6:7], vcc
	s_xor_b64 s[6:7], exec, s[6:7]
	s_cbranch_execz .LBB0_15
; %bb.14:
	v_mov_b32_e32 v57, 0
	v_lshl_add_u64 v[4:5], v[56:57], 4, s[2:3]
	global_load_dwordx4 v[8:11], v[4:5], off
	ds_read_b64 v[4:5], v6 offset:8456
	ds_read_b64 v[12:13], v60 offset:8
	s_waitcnt lgkmcnt(0)
	v_add_f64 v[18:19], v[4:5], v[12:13]
	v_add_f64 v[4:5], v[12:13], -v[4:5]
	s_waitcnt vmcnt(0)
	v_fma_f64 v[20:21], v[2:3], v[10:11], v[0:1]
	v_fma_f64 v[12:13], v[18:19], v[10:11], v[4:5]
	v_fma_f64 v[14:15], -v[2:3], v[10:11], v[0:1]
	v_fma_f64 v[16:17], v[18:19], v[10:11], -v[4:5]
	v_fma_f64 v[10:11], -v[18:19], v[8:9], v[20:21]
	v_fmac_f64_e32 v[12:13], v[2:3], v[8:9]
	v_fmac_f64_e32 v[14:15], v[18:19], v[8:9]
	;; [unrolled: 1-line block ×3, first 2 shown]
	ds_write_b128 v60, v[10:13]
	ds_write_b128 v6, v[14:17] offset:8448
	v_mov_b64_e32 v[4:5], v[56:57]
                                        ; implicit-def: $vgpr0_vgpr1
.LBB0_15:
	s_andn2_saveexec_b64 s[6:7], s[6:7]
	s_cbranch_execz .LBB0_17
; %bb.16:
	ds_write_b128 v60, v[0:3]
	v_mov_b32_e32 v4, 0
	ds_read_b128 v[0:3], v4 offset:4224
	s_waitcnt lgkmcnt(0)
	v_add_f64 v[0:1], v[0:1], v[0:1]
	v_mul_f64 v[2:3], v[2:3], -2.0
	ds_write_b128 v4, v[0:3] offset:4224
	v_mov_b64_e32 v[4:5], 0
.LBB0_17:
	s_or_b64 exec, exec, s[6:7]
	v_lshl_add_u64 v[0:1], v[4:5], 4, s[2:3]
	global_load_dwordx4 v[2:5], v[0:1], off offset:768
	global_load_dwordx4 v[8:11], v[0:1], off offset:1536
	;; [unrolled: 1-line block ×4, first 2 shown]
	ds_read_b128 v[20:23], v60 offset:768
	ds_read_b128 v[24:27], v6 offset:7680
	v_cmp_gt_u32_e32 vcc, 24, v56
	s_waitcnt lgkmcnt(0)
	v_add_f64 v[28:29], v[20:21], v[24:25]
	v_add_f64 v[30:31], v[26:27], v[22:23]
	v_add_f64 v[32:33], v[20:21], -v[24:25]
	v_add_f64 v[20:21], v[22:23], -v[26:27]
	s_waitcnt vmcnt(3)
	v_fma_f64 v[34:35], v[32:33], v[4:5], v[28:29]
	v_fma_f64 v[22:23], v[30:31], v[4:5], v[20:21]
	v_fma_f64 v[24:25], -v[32:33], v[4:5], v[28:29]
	v_fma_f64 v[26:27], v[30:31], v[4:5], -v[20:21]
	v_fma_f64 v[20:21], -v[30:31], v[2:3], v[34:35]
	v_fmac_f64_e32 v[22:23], v[32:33], v[2:3]
	v_fmac_f64_e32 v[24:25], v[30:31], v[2:3]
	v_fmac_f64_e32 v[26:27], v[32:33], v[2:3]
	ds_write_b128 v60, v[20:23] offset:768
	ds_write_b128 v6, v[24:27] offset:7680
	ds_read_b128 v[2:5], v60 offset:1536
	ds_read_b128 v[20:23], v6 offset:6912
	s_waitcnt lgkmcnt(0)
	v_add_f64 v[24:25], v[2:3], v[20:21]
	v_add_f64 v[26:27], v[22:23], v[4:5]
	v_add_f64 v[28:29], v[2:3], -v[20:21]
	v_add_f64 v[2:3], v[4:5], -v[22:23]
	s_waitcnt vmcnt(2)
	v_fma_f64 v[30:31], v[28:29], v[10:11], v[24:25]
	v_fma_f64 v[4:5], v[26:27], v[10:11], v[2:3]
	v_fma_f64 v[20:21], -v[28:29], v[10:11], v[24:25]
	v_fma_f64 v[22:23], v[26:27], v[10:11], -v[2:3]
	v_fma_f64 v[2:3], -v[26:27], v[8:9], v[30:31]
	v_fmac_f64_e32 v[4:5], v[28:29], v[8:9]
	v_fmac_f64_e32 v[20:21], v[26:27], v[8:9]
	v_fmac_f64_e32 v[22:23], v[28:29], v[8:9]
	ds_write_b128 v60, v[2:5] offset:1536
	ds_write_b128 v6, v[20:23] offset:6912
	ds_read_b128 v[2:5], v60 offset:2304
	ds_read_b128 v[8:11], v6 offset:6144
	;; [unrolled: 18-line block ×3, first 2 shown]
	s_waitcnt lgkmcnt(0)
	v_add_f64 v[12:13], v[2:3], v[8:9]
	v_add_f64 v[14:15], v[10:11], v[4:5]
	v_add_f64 v[20:21], v[2:3], -v[8:9]
	v_add_f64 v[2:3], v[4:5], -v[10:11]
	s_waitcnt vmcnt(0)
	v_fma_f64 v[22:23], v[20:21], v[18:19], v[12:13]
	v_fma_f64 v[4:5], v[14:15], v[18:19], v[2:3]
	v_fma_f64 v[8:9], -v[20:21], v[18:19], v[12:13]
	v_fma_f64 v[10:11], v[14:15], v[18:19], -v[2:3]
	v_fma_f64 v[2:3], -v[14:15], v[16:17], v[22:23]
	v_fmac_f64_e32 v[4:5], v[20:21], v[16:17]
	v_fmac_f64_e32 v[8:9], v[14:15], v[16:17]
	;; [unrolled: 1-line block ×3, first 2 shown]
	ds_write_b128 v60, v[2:5] offset:3072
	ds_write_b128 v6, v[8:11] offset:5376
	s_and_saveexec_b64 s[2:3], vcc
	s_cbranch_execz .LBB0_19
; %bb.18:
	global_load_dwordx4 v[0:3], v[0:1], off offset:3840
	ds_read_b128 v[8:11], v60 offset:3840
	ds_read_b128 v[12:15], v6 offset:4608
	s_waitcnt lgkmcnt(0)
	v_add_f64 v[16:17], v[8:9], v[12:13]
	v_add_f64 v[18:19], v[14:15], v[10:11]
	v_add_f64 v[12:13], v[8:9], -v[12:13]
	v_add_f64 v[10:11], v[10:11], -v[14:15]
	s_waitcnt vmcnt(0)
	v_fma_f64 v[14:15], v[12:13], v[2:3], v[16:17]
	v_fma_f64 v[4:5], v[18:19], v[2:3], v[10:11]
	v_fma_f64 v[8:9], -v[12:13], v[2:3], v[16:17]
	v_fma_f64 v[10:11], v[18:19], v[2:3], -v[10:11]
	v_fma_f64 v[2:3], -v[18:19], v[0:1], v[14:15]
	v_fmac_f64_e32 v[4:5], v[12:13], v[0:1]
	v_fmac_f64_e32 v[8:9], v[18:19], v[0:1]
	;; [unrolled: 1-line block ×3, first 2 shown]
	ds_write_b128 v60, v[2:5] offset:3840
	ds_write_b128 v6, v[8:11] offset:4608
.LBB0_19:
	s_or_b64 exec, exec, s[2:3]
	s_waitcnt lgkmcnt(0)
	; wave barrier
	s_waitcnt lgkmcnt(0)
	s_waitcnt lgkmcnt(0)
	; wave barrier
	s_waitcnt lgkmcnt(0)
	ds_read_b128 v[0:3], v60
	ds_read_b128 v[4:7], v60 offset:768
	ds_read_b128 v[8:11], v60 offset:4224
	ds_read_b128 v[12:15], v60 offset:4992
	ds_read_b128 v[16:19], v60 offset:2112
	ds_read_b128 v[20:23], v60 offset:1536
	ds_read_b128 v[24:27], v60 offset:2880
	ds_read_b128 v[28:31], v60 offset:3648
	ds_read_b128 v[32:35], v60 offset:6336
	ds_read_b128 v[36:39], v60 offset:5760
	ds_read_b128 v[40:43], v60 offset:7104
	ds_read_b128 v[44:47], v60 offset:7872
	s_waitcnt lgkmcnt(9)
	v_add_f64 v[8:9], v[0:1], -v[8:9]
	v_add_f64 v[10:11], v[2:3], -v[10:11]
	s_waitcnt lgkmcnt(3)
	v_add_f64 v[54:55], v[16:17], -v[32:33]
	v_add_f64 v[52:53], v[18:19], -v[34:35]
	v_fma_f64 v[0:1], v[0:1], 2.0, -v[8:9]
	v_fma_f64 v[2:3], v[2:3], 2.0, -v[10:11]
	;; [unrolled: 1-line block ×4, first 2 shown]
	v_add_f64 v[32:33], v[0:1], -v[16:17]
	v_add_f64 v[34:35], v[2:3], -v[18:19]
	v_fma_f64 v[48:49], v[0:1], 2.0, -v[32:33]
	v_fma_f64 v[50:51], v[2:3], 2.0, -v[34:35]
	v_add_f64 v[52:53], v[8:9], -v[52:53]
	v_add_f64 v[54:55], v[10:11], v[54:55]
	v_add_f64 v[0:1], v[4:5], -v[12:13]
	v_add_f64 v[2:3], v[6:7], -v[14:15]
	s_waitcnt lgkmcnt(1)
	v_add_f64 v[16:17], v[24:25], -v[40:41]
	v_add_f64 v[18:19], v[26:27], -v[42:43]
	v_fma_f64 v[62:63], v[8:9], 2.0, -v[52:53]
	v_fma_f64 v[64:65], v[10:11], 2.0, -v[54:55]
	;; [unrolled: 1-line block ×6, first 2 shown]
	v_add_f64 v[24:25], v[0:1], -v[18:19]
	v_add_f64 v[26:27], v[2:3], v[16:17]
	v_add_f64 v[16:17], v[20:21], -v[36:37]
	v_add_f64 v[18:19], v[22:23], -v[38:39]
	;; [unrolled: 1-line block ×4, first 2 shown]
	v_fma_f64 v[40:41], v[0:1], 2.0, -v[24:25]
	v_fma_f64 v[42:43], v[2:3], 2.0, -v[26:27]
	;; [unrolled: 1-line block ×4, first 2 shown]
	s_waitcnt lgkmcnt(0)
	v_add_f64 v[22:23], v[28:29], -v[44:45]
	v_add_f64 v[20:21], v[30:31], -v[46:47]
	v_fma_f64 v[12:13], v[8:9], 2.0, -v[4:5]
	v_fma_f64 v[14:15], v[10:11], 2.0, -v[6:7]
	;; [unrolled: 1-line block ×4, first 2 shown]
	v_add_u32_e32 v61, 48, v56
	v_add_f64 v[8:9], v[0:1], -v[8:9]
	v_add_f64 v[10:11], v[2:3], -v[10:11]
	;; [unrolled: 1-line block ×3, first 2 shown]
	v_add_f64 v[22:23], v[18:19], v[22:23]
	v_mad_u32_u24 v28, v56, 48, v60
	v_add_u32_e32 v57, 0x60, v56
	v_fma_f64 v[0:1], v[0:1], 2.0, -v[8:9]
	v_fma_f64 v[2:3], v[2:3], 2.0, -v[10:11]
	;; [unrolled: 1-line block ×4, first 2 shown]
	s_waitcnt lgkmcnt(0)
	; wave barrier
	ds_write_b128 v28, v[48:51]
	ds_write_b128 v28, v[62:65] offset:16
	ds_write_b128 v28, v[32:35] offset:32
	;; [unrolled: 1-line block ×3, first 2 shown]
	v_lshl_add_u32 v28, v61, 6, 0
	v_cmp_gt_u32_e32 vcc, 36, v56
	ds_write_b128 v28, v[12:15]
	ds_write_b128 v28, v[40:43] offset:16
	ds_write_b128 v28, v[4:7] offset:32
	;; [unrolled: 1-line block ×3, first 2 shown]
	s_and_saveexec_b64 s[2:3], vcc
	s_cbranch_execz .LBB0_21
; %bb.20:
	v_lshl_add_u32 v4, v57, 6, 0
	ds_write_b128 v4, v[0:3]
	ds_write_b128 v4, v[16:19] offset:16
	ds_write_b128 v4, v[8:11] offset:32
	;; [unrolled: 1-line block ×3, first 2 shown]
.LBB0_21:
	s_or_b64 exec, exec, s[2:3]
	s_waitcnt lgkmcnt(0)
	; wave barrier
	s_waitcnt lgkmcnt(0)
	ds_read_b128 v[12:15], v60
	ds_read_b128 v[4:7], v60 offset:768
	ds_read_b128 v[44:47], v60 offset:2112
	;; [unrolled: 1-line block ×7, first 2 shown]
	v_lshlrev_b32_e32 v48, 2, v61
	s_and_saveexec_b64 s[2:3], vcc
	s_cbranch_execz .LBB0_23
; %bb.22:
	ds_read_b128 v[0:3], v60 offset:1536
	ds_read_b128 v[16:19], v60 offset:3648
	;; [unrolled: 1-line block ×4, first 2 shown]
.LBB0_23:
	s_or_b64 exec, exec, s[2:3]
	v_and_b32_e32 v49, 3, v56
	v_mul_u32_u24_e32 v50, 3, v49
	v_lshlrev_b32_e32 v54, 4, v50
	global_load_dwordx4 v[50:53], v54, s[4:5]
	global_load_dwordx4 v[62:65], v54, s[4:5] offset:16
	global_load_dwordx4 v[66:69], v54, s[4:5] offset:32
	v_lshlrev_b32_e32 v90, 2, v56
	s_movk_i32 s2, 0xf0
	s_waitcnt lgkmcnt(0)
	; wave barrier
	s_waitcnt vmcnt(2) lgkmcnt(0)
	v_mul_f64 v[54:55], v[46:47], v[52:53]
	v_mul_f64 v[70:71], v[44:45], v[52:53]
	;; [unrolled: 1-line block ×6, first 2 shown]
	s_waitcnt vmcnt(1)
	v_mul_f64 v[78:79], v[38:39], v[64:65]
	v_mul_f64 v[80:81], v[36:37], v[64:65]
	;; [unrolled: 1-line block ×6, first 2 shown]
	s_waitcnt vmcnt(0)
	v_mul_f64 v[88:89], v[30:31], v[68:69]
	v_fma_f64 v[44:45], v[44:45], v[50:51], -v[54:55]
	v_fmac_f64_e32 v[70:71], v[46:47], v[50:51]
	v_mul_f64 v[46:47], v[28:29], v[68:69]
	v_mul_f64 v[54:55], v[26:27], v[68:69]
	v_fmac_f64_e32 v[74:75], v[42:43], v[50:51]
	v_mul_f64 v[42:43], v[24:25], v[68:69]
	v_fmac_f64_e32 v[52:53], v[18:19], v[50:51]
	v_fma_f64 v[18:19], v[36:37], v[62:63], -v[78:79]
	v_fmac_f64_e32 v[64:65], v[10:11], v[62:63]
	v_fma_f64 v[10:11], v[28:29], v[66:67], -v[88:89]
	v_fma_f64 v[40:41], v[40:41], v[50:51], -v[72:73]
	v_mul_f64 v[72:73], v[22:23], v[68:69]
	v_fma_f64 v[76:77], v[16:17], v[50:51], -v[76:77]
	v_mul_f64 v[16:17], v[20:21], v[68:69]
	v_fmac_f64_e32 v[80:81], v[38:39], v[62:63]
	v_fma_f64 v[32:33], v[32:33], v[62:63], -v[82:83]
	v_fmac_f64_e32 v[84:85], v[34:35], v[62:63]
	v_fmac_f64_e32 v[46:47], v[30:31], v[66:67]
	v_fma_f64 v[24:25], v[24:25], v[66:67], -v[54:55]
	v_fmac_f64_e32 v[42:43], v[26:27], v[66:67]
	v_add_f64 v[28:29], v[12:13], -v[18:19]
	v_add_f64 v[10:11], v[44:45], -v[10:11]
	v_fma_f64 v[8:9], v[8:9], v[62:63], -v[86:87]
	v_fma_f64 v[20:21], v[20:21], v[66:67], -v[72:73]
	v_fmac_f64_e32 v[16:17], v[22:23], v[66:67]
	v_add_f64 v[30:31], v[14:15], -v[80:81]
	v_add_f64 v[18:19], v[70:71], -v[46:47]
	;; [unrolled: 1-line block ×6, first 2 shown]
	v_fma_f64 v[50:51], v[12:13], 2.0, -v[28:29]
	v_fma_f64 v[32:33], v[44:45], 2.0, -v[10:11]
	v_add_f64 v[42:43], v[0:1], -v[8:9]
	v_add_f64 v[46:47], v[2:3], -v[64:65]
	;; [unrolled: 1-line block ×4, first 2 shown]
	v_fma_f64 v[54:55], v[14:15], 2.0, -v[30:31]
	v_fma_f64 v[34:35], v[70:71], 2.0, -v[18:19]
	v_add_f64 v[16:17], v[28:29], -v[18:19]
	v_add_f64 v[18:19], v[30:31], v[10:11]
	v_fma_f64 v[62:63], v[6:7], 2.0, -v[38:39]
	v_fma_f64 v[10:11], v[40:41], 2.0, -v[22:23]
	;; [unrolled: 1-line block ×3, first 2 shown]
	v_add_f64 v[20:21], v[36:37], -v[24:25]
	v_add_f64 v[24:25], v[50:51], -v[32:33]
	v_fma_f64 v[44:45], v[4:5], 2.0, -v[36:37]
	v_fma_f64 v[12:13], v[0:1], 2.0, -v[42:43]
	;; [unrolled: 1-line block ×5, first 2 shown]
	v_add_f64 v[4:5], v[42:43], -v[26:27]
	v_add_f64 v[26:27], v[54:55], -v[34:35]
	;; [unrolled: 1-line block ×3, first 2 shown]
	v_fma_f64 v[40:41], v[50:51], 2.0, -v[24:25]
	v_and_or_b32 v50, v90, s2, v49
	v_add_f64 v[6:7], v[46:47], v[8:9]
	v_add_f64 v[8:9], v[12:13], -v[0:1]
	v_fma_f64 v[0:1], v[42:43], 2.0, -v[4:5]
	v_fma_f64 v[42:43], v[54:55], 2.0, -v[26:27]
	v_lshl_add_u32 v50, v50, 4, 0
	s_movk_i32 s2, 0x1f0
	v_fma_f64 v[28:29], v[28:29], 2.0, -v[16:17]
	v_fma_f64 v[30:31], v[30:31], 2.0, -v[18:19]
	v_add_f64 v[32:33], v[44:45], -v[10:11]
	ds_write_b128 v50, v[40:43]
	ds_write_b128 v50, v[28:31] offset:64
	ds_write_b128 v50, v[24:27] offset:128
	;; [unrolled: 1-line block ×3, first 2 shown]
	v_and_or_b32 v16, v48, s2, v49
	v_add_f64 v[22:23], v[38:39], v[22:23]
	v_add_f64 v[10:11], v[14:15], -v[2:3]
	v_fma_f64 v[2:3], v[46:47], 2.0, -v[6:7]
	v_fma_f64 v[44:45], v[44:45], 2.0, -v[32:33]
	;; [unrolled: 1-line block ×3, first 2 shown]
	v_lshl_add_u32 v16, v16, 4, 0
	v_fma_f64 v[36:37], v[36:37], 2.0, -v[20:21]
	v_fma_f64 v[38:39], v[38:39], 2.0, -v[22:23]
	ds_write_b128 v16, v[44:47]
	ds_write_b128 v16, v[36:39] offset:64
	ds_write_b128 v16, v[32:35] offset:128
	ds_write_b128 v16, v[20:23] offset:192
	s_and_saveexec_b64 s[2:3], vcc
	s_cbranch_execz .LBB0_25
; %bb.24:
	v_lshlrev_b32_e32 v16, 2, v57
	s_movk_i32 s6, 0x3f0
	v_and_or_b32 v16, v16, s6, v49
	v_fma_f64 v[14:15], v[14:15], 2.0, -v[10:11]
	v_fma_f64 v[12:13], v[12:13], 2.0, -v[8:9]
	v_lshl_add_u32 v16, v16, 4, 0
	ds_write_b128 v16, v[12:15]
	ds_write_b128 v16, v[0:3] offset:64
	ds_write_b128 v16, v[8:11] offset:128
	;; [unrolled: 1-line block ×3, first 2 shown]
.LBB0_25:
	s_or_b64 exec, exec, s[2:3]
	s_waitcnt lgkmcnt(0)
	; wave barrier
	s_waitcnt lgkmcnt(0)
	ds_read_b128 v[20:23], v60
	ds_read_b128 v[16:19], v60 offset:768
	ds_read_b128 v[32:35], v60 offset:5632
	;; [unrolled: 1-line block ×8, first 2 shown]
	v_cmp_gt_u32_e32 vcc, 32, v56
	s_and_saveexec_b64 s[2:3], vcc
	s_cbranch_execz .LBB0_27
; %bb.26:
	ds_read_b128 v[0:3], v60 offset:2304
	ds_read_b128 v[8:11], v60 offset:5120
	;; [unrolled: 1-line block ×3, first 2 shown]
.LBB0_27:
	s_or_b64 exec, exec, s[2:3]
	v_and_b32_e32 v62, 15, v56
	v_lshlrev_b32_e32 v63, 5, v62
	global_load_dwordx4 v[52:55], v63, s[4:5] offset:192
	global_load_dwordx4 v[48:51], v63, s[4:5] offset:208
	v_lshrrev_b32_e32 v63, 4, v56
	s_mov_b32 s2, 0xe8584caa
	v_lshrrev_b32_e32 v61, 4, v61
	v_mul_u32_u24_e32 v63, 48, v63
	s_mov_b32 s3, 0x3febb67a
	s_mov_b32 s7, 0xbfebb67a
	;; [unrolled: 1-line block ×3, first 2 shown]
	v_mul_u32_u24_e32 v61, 48, v61
	v_or_b32_e32 v63, v63, v62
	v_or_b32_e32 v61, v61, v62
	v_lshl_add_u32 v63, v63, 4, 0
	s_waitcnt lgkmcnt(0)
	; wave barrier
	s_waitcnt lgkmcnt(0)
	v_lshl_add_u32 v61, v61, 4, 0
	s_waitcnt vmcnt(1)
	v_mul_f64 v[72:73], v[42:43], v[54:55]
	s_waitcnt vmcnt(0)
	v_mul_f64 v[70:71], v[32:33], v[50:51]
	v_mul_f64 v[76:77], v[26:27], v[50:51]
	;; [unrolled: 1-line block ×7, first 2 shown]
	v_fmac_f64_e32 v[70:71], v[34:35], v[48:49]
	v_fma_f64 v[34:35], v[40:41], v[52:53], -v[72:73]
	v_fma_f64 v[40:41], v[24:25], v[48:49], -v[76:77]
	v_mul_f64 v[80:81], v[38:39], v[54:55]
	v_mul_f64 v[82:83], v[36:37], v[54:55]
	;; [unrolled: 1-line block ×4, first 2 shown]
	v_fma_f64 v[44:45], v[44:45], v[52:53], -v[64:65]
	v_fmac_f64_e32 v[66:67], v[46:47], v[52:53]
	v_fma_f64 v[32:33], v[32:33], v[48:49], -v[68:69]
	v_fmac_f64_e32 v[74:75], v[42:43], v[52:53]
	v_fmac_f64_e32 v[78:79], v[26:27], v[48:49]
	v_add_f64 v[64:65], v[34:35], v[40:41]
	v_fma_f64 v[24:25], v[36:37], v[52:53], -v[80:81]
	v_fmac_f64_e32 v[82:83], v[38:39], v[52:53]
	v_fma_f64 v[36:37], v[28:29], v[48:49], -v[84:85]
	v_fmac_f64_e32 v[86:87], v[30:31], v[48:49]
	v_add_f64 v[26:27], v[20:21], v[44:45]
	v_add_f64 v[28:29], v[44:45], v[32:33]
	v_add_f64 v[38:39], v[66:67], -v[70:71]
	v_add_f64 v[30:31], v[22:23], v[66:67]
	v_add_f64 v[42:43], v[66:67], v[70:71]
	;; [unrolled: 1-line block ×3, first 2 shown]
	v_add_f64 v[66:67], v[74:75], -v[78:79]
	v_add_f64 v[72:73], v[74:75], v[78:79]
	v_fmac_f64_e32 v[16:17], -0.5, v[64:65]
	v_add_f64 v[44:45], v[44:45], -v[32:33]
	v_add_f64 v[68:69], v[18:19], v[74:75]
	v_add_f64 v[74:75], v[34:35], -v[40:41]
	v_add_f64 v[34:35], v[12:13], v[24:25]
	v_add_f64 v[76:77], v[24:25], v[36:37]
	v_add_f64 v[88:89], v[24:25], -v[36:37]
	v_add_f64 v[24:25], v[26:27], v[32:33]
	v_add_f64 v[26:27], v[30:31], v[70:71]
	v_fmac_f64_e32 v[20:21], -0.5, v[28:29]
	v_fmac_f64_e32 v[22:23], -0.5, v[42:43]
	v_add_f64 v[28:29], v[46:47], v[40:41]
	v_fmac_f64_e32 v[18:19], -0.5, v[72:73]
	v_fma_f64 v[40:41], s[2:3], v[66:67], v[16:17]
	v_fmac_f64_e32 v[16:17], s[6:7], v[66:67]
	v_add_f64 v[30:31], v[68:69], v[78:79]
	v_add_f64 v[32:33], v[34:35], v[36:37]
	v_fma_f64 v[36:37], s[2:3], v[38:39], v[20:21]
	v_fmac_f64_e32 v[20:21], s[6:7], v[38:39]
	v_fma_f64 v[38:39], s[6:7], v[44:45], v[22:23]
	v_fmac_f64_e32 v[22:23], s[2:3], v[44:45]
	;; [unrolled: 2-line block ×3, first 2 shown]
	ds_write_b128 v63, v[24:27]
	ds_write_b128 v63, v[36:39] offset:256
	ds_write_b128 v63, v[20:23] offset:512
	ds_write_b128 v61, v[28:31]
	ds_write_b128 v61, v[40:43] offset:256
	ds_write_b128 v61, v[16:19] offset:512
	v_lshrrev_b32_e32 v16, 4, v57
	v_mul_u32_u24_e32 v16, 48, v16
	v_add_f64 v[80:81], v[82:83], -v[86:87]
	v_add_f64 v[84:85], v[14:15], v[82:83]
	v_add_f64 v[82:83], v[82:83], v[86:87]
	v_or_b32_e32 v16, v16, v62
	v_fmac_f64_e32 v[12:13], -0.5, v[76:77]
	v_add_f64 v[34:35], v[84:85], v[86:87]
	v_fmac_f64_e32 v[14:15], -0.5, v[82:83]
	v_lshl_add_u32 v16, v16, 4, 0
	v_fma_f64 v[44:45], s[2:3], v[80:81], v[12:13]
	v_fmac_f64_e32 v[12:13], s[6:7], v[80:81]
	v_fma_f64 v[46:47], s[6:7], v[88:89], v[14:15]
	v_fmac_f64_e32 v[14:15], s[2:3], v[88:89]
	ds_write_b128 v16, v[32:35]
	ds_write_b128 v16, v[44:47] offset:256
	ds_write_b128 v16, v[12:15] offset:512
	s_and_saveexec_b64 s[8:9], vcc
	s_cbranch_execz .LBB0_29
; %bb.28:
	v_mul_f64 v[18:19], v[8:9], v[54:55]
	v_mul_f64 v[12:13], v[10:11], v[54:55]
	v_fmac_f64_e32 v[18:19], v[10:11], v[52:53]
	v_mul_f64 v[10:11], v[4:5], v[50:51]
	v_fma_f64 v[14:15], v[8:9], v[52:53], -v[12:13]
	v_mul_f64 v[12:13], v[6:7], v[50:51]
	v_fmac_f64_e32 v[10:11], v[6:7], v[48:49]
	v_fma_f64 v[16:17], v[4:5], v[48:49], -v[12:13]
	v_add_f64 v[4:5], v[18:19], v[10:11]
	v_add_f64 v[12:13], v[14:15], -v[16:17]
	v_fma_f64 v[4:5], -0.5, v[4:5], v[2:3]
	v_add_f64 v[2:3], v[2:3], v[18:19]
	v_fma_f64 v[8:9], s[2:3], v[12:13], v[4:5]
	v_fmac_f64_e32 v[4:5], s[6:7], v[12:13]
	v_add_f64 v[12:13], v[2:3], v[10:11]
	v_add_f64 v[2:3], v[14:15], v[16:17]
	v_add_u32_e32 v20, 0x90, v56
	v_fma_f64 v[2:3], -0.5, v[2:3], v[0:1]
	v_add_f64 v[10:11], v[18:19], -v[10:11]
	v_add_f64 v[0:1], v[0:1], v[14:15]
	v_fma_f64 v[6:7], s[6:7], v[10:11], v[2:3]
	v_fmac_f64_e32 v[2:3], s[2:3], v[10:11]
	v_add_f64 v[10:11], v[0:1], v[16:17]
	v_lshrrev_b32_e32 v0, 4, v20
	v_mul_u32_u24_e32 v0, 48, v0
	v_or_b32_e32 v0, v0, v62
	v_lshl_add_u32 v0, v0, 4, 0
	ds_write_b128 v0, v[10:13]
	ds_write_b128 v0, v[2:5] offset:256
	ds_write_b128 v0, v[6:9] offset:512
.LBB0_29:
	s_or_b64 exec, exec, s[8:9]
	v_mul_u32_u24_e32 v0, 10, v56
	v_lshlrev_b32_e32 v12, 4, v0
	s_waitcnt lgkmcnt(0)
	; wave barrier
	s_waitcnt lgkmcnt(0)
	global_load_dwordx4 v[0:3], v12, s[4:5] offset:704
	global_load_dwordx4 v[4:7], v12, s[4:5] offset:720
	;; [unrolled: 1-line block ×10, first 2 shown]
	ds_read_b128 v[46:49], v60
	ds_read_b128 v[12:15], v60 offset:768
	ds_read_b128 v[50:53], v60 offset:1536
	;; [unrolled: 1-line block ×10, first 2 shown]
	s_mov_b32 s12, 0xf8bb580b
	s_mov_b32 s10, 0x43842ef
	;; [unrolled: 1-line block ×26, first 2 shown]
	s_waitcnt lgkmcnt(0)
	; wave barrier
	s_waitcnt vmcnt(9) lgkmcnt(0)
	v_mul_f64 v[16:17], v[14:15], v[2:3]
	v_mul_f64 v[2:3], v[12:13], v[2:3]
	v_fma_f64 v[54:55], v[12:13], v[0:1], -v[16:17]
	v_fmac_f64_e32 v[2:3], v[14:15], v[0:1]
	s_waitcnt vmcnt(8)
	v_mul_f64 v[0:1], v[52:53], v[6:7]
	v_mul_f64 v[94:95], v[50:51], v[6:7]
	s_waitcnt vmcnt(7)
	v_mul_f64 v[6:7], v[64:65], v[10:11]
	v_mul_f64 v[96:97], v[62:63], v[10:11]
	v_fma_f64 v[50:51], v[50:51], v[4:5], -v[0:1]
	v_fmac_f64_e32 v[94:95], v[52:53], v[4:5]
	s_waitcnt vmcnt(6)
	v_mul_f64 v[0:1], v[68:69], v[20:21]
	s_waitcnt vmcnt(5)
	v_mul_f64 v[10:11], v[72:73], v[24:25]
	v_mul_f64 v[4:5], v[70:71], v[24:25]
	;; [unrolled: 1-line block ×3, first 2 shown]
	v_fma_f64 v[20:21], v[62:63], v[8:9], -v[6:7]
	v_fmac_f64_e32 v[96:97], v[64:65], v[8:9]
	s_waitcnt vmcnt(4)
	v_mul_f64 v[24:25], v[76:77], v[28:29]
	v_mul_f64 v[6:7], v[74:75], v[28:29]
	s_waitcnt vmcnt(3)
	v_mul_f64 v[28:29], v[80:81], v[32:33]
	v_fma_f64 v[16:17], v[66:67], v[18:19], -v[0:1]
	s_waitcnt vmcnt(2)
	v_mul_f64 v[0:1], v[84:85], v[36:37]
	v_fma_f64 v[8:9], v[70:71], v[22:23], -v[10:11]
	v_fmac_f64_e32 v[4:5], v[72:73], v[22:23]
	s_waitcnt vmcnt(0)
	v_mul_f64 v[22:23], v[92:93], v[44:45]
	v_mul_f64 v[44:45], v[90:91], v[44:45]
	;; [unrolled: 1-line block ×3, first 2 shown]
	v_fmac_f64_e32 v[12:13], v[68:69], v[18:19]
	v_mul_f64 v[32:33], v[82:83], v[36:37]
	v_mul_f64 v[36:37], v[88:89], v[40:41]
	;; [unrolled: 1-line block ×3, first 2 shown]
	v_fma_f64 v[10:11], v[74:75], v[26:27], -v[24:25]
	v_fma_f64 v[18:19], v[78:79], v[30:31], -v[28:29]
	;; [unrolled: 1-line block ×4, first 2 shown]
	v_fmac_f64_e32 v[44:45], v[92:93], v[42:43]
	v_add_f64 v[22:23], v[46:47], v[54:55]
	v_add_f64 v[28:29], v[48:49], v[2:3]
	v_fmac_f64_e32 v[6:7], v[76:77], v[26:27]
	v_fmac_f64_e32 v[32:33], v[84:85], v[34:35]
	v_fma_f64 v[26:27], v[86:87], v[38:39], -v[36:37]
	v_fmac_f64_e32 v[40:41], v[88:89], v[38:39]
	v_add_f64 v[34:35], v[2:3], v[44:45]
	v_add_f64 v[38:39], v[2:3], -v[44:45]
	v_add_f64 v[2:3], v[22:23], v[50:51]
	v_add_f64 v[22:23], v[28:29], v[94:95]
	;; [unrolled: 1-line block ×8, first 2 shown]
	v_fmac_f64_e32 v[14:15], v[80:81], v[30:31]
	v_add_f64 v[2:3], v[2:3], v[10:11]
	v_add_f64 v[22:23], v[22:23], v[6:7]
	;; [unrolled: 1-line block ×5, first 2 shown]
	v_mul_f64 v[28:29], v[38:39], s[12:13]
	v_add_f64 v[2:3], v[2:3], v[24:25]
	v_add_f64 v[22:23], v[22:23], v[32:33]
	v_mul_f64 v[52:53], v[38:39], s[8:9]
	v_mul_f64 v[66:67], v[38:39], s[10:11]
	v_mul_f64 v[74:75], v[38:39], s[16:17]
	v_mul_f64 v[38:39], v[38:39], s[20:21]
	v_add_f64 v[36:37], v[54:55], -v[0:1]
	v_add_f64 v[2:3], v[2:3], v[26:27]
	v_add_f64 v[22:23], v[22:23], v[40:41]
	v_fma_f64 v[82:83], v[30:31], s[18:19], -v[38:39]
	v_fmac_f64_e32 v[38:39], s[18:19], v[30:31]
	v_add_f64 v[0:1], v[2:3], v[0:1]
	v_add_f64 v[2:3], v[22:23], v[44:45]
	v_fma_f64 v[22:23], v[30:31], s[2:3], -v[28:29]
	v_mul_f64 v[42:43], v[36:37], s[12:13]
	v_fmac_f64_e32 v[28:29], s[2:3], v[30:31]
	v_fma_f64 v[54:55], v[30:31], s[4:5], -v[52:53]
	v_mul_f64 v[62:63], v[36:37], s[8:9]
	v_fmac_f64_e32 v[52:53], s[4:5], v[30:31]
	;; [unrolled: 3-line block ×4, first 2 shown]
	v_mul_f64 v[36:37], v[36:37], s[20:21]
	v_add_f64 v[30:31], v[46:47], v[38:39]
	v_add_f64 v[38:39], v[94:95], v[40:41]
	v_add_f64 v[40:41], v[94:95], -v[40:41]
	v_add_f64 v[22:23], v[46:47], v[22:23]
	v_fma_f64 v[44:45], s[2:3], v[34:35], v[42:43]
	v_add_f64 v[28:29], v[46:47], v[28:29]
	v_fma_f64 v[42:43], v[34:35], s[2:3], -v[42:43]
	v_add_f64 v[54:55], v[46:47], v[54:55]
	v_fma_f64 v[64:65], s[4:5], v[34:35], v[62:63]
	v_add_f64 v[52:53], v[46:47], v[52:53]
	v_fma_f64 v[62:63], v[34:35], s[4:5], -v[62:63]
	;; [unrolled: 4-line block ×4, first 2 shown]
	v_add_f64 v[82:83], v[46:47], v[82:83]
	v_fma_f64 v[84:85], s[18:19], v[34:35], v[36:37]
	v_fma_f64 v[34:35], v[34:35], s[18:19], -v[36:37]
	v_add_f64 v[36:37], v[50:51], v[26:27]
	v_mul_f64 v[46:47], v[40:41], s[8:9]
	v_add_f64 v[44:45], v[48:49], v[44:45]
	v_add_f64 v[42:43], v[48:49], v[42:43]
	;; [unrolled: 1-line block ×10, first 2 shown]
	v_add_f64 v[26:27], v[50:51], -v[26:27]
	v_fma_f64 v[48:49], v[36:37], s[4:5], -v[46:47]
	v_add_f64 v[22:23], v[48:49], v[22:23]
	v_mul_f64 v[48:49], v[26:27], s[8:9]
	v_fmac_f64_e32 v[46:47], s[4:5], v[36:37]
	v_add_f64 v[28:29], v[46:47], v[28:29]
	v_fma_f64 v[46:47], v[38:39], s[4:5], -v[48:49]
	v_fma_f64 v[50:51], s[4:5], v[38:39], v[48:49]
	v_add_f64 v[42:43], v[46:47], v[42:43]
	v_mul_f64 v[46:47], v[40:41], s[16:17]
	v_add_f64 v[44:45], v[50:51], v[44:45]
	v_fma_f64 v[48:49], v[36:37], s[14:15], -v[46:47]
	v_mul_f64 v[50:51], v[26:27], s[16:17]
	v_fmac_f64_e32 v[46:47], s[14:15], v[36:37]
	v_add_f64 v[48:49], v[48:49], v[54:55]
	v_fma_f64 v[54:55], s[14:15], v[38:39], v[50:51]
	v_add_f64 v[46:47], v[46:47], v[52:53]
	v_fma_f64 v[50:51], v[38:39], s[14:15], -v[50:51]
	v_mul_f64 v[52:53], v[40:41], s[26:27]
	v_add_f64 v[54:55], v[54:55], v[64:65]
	v_add_f64 v[50:51], v[50:51], v[62:63]
	v_fma_f64 v[62:63], v[36:37], s[18:19], -v[52:53]
	v_mul_f64 v[64:65], v[26:27], s[26:27]
	v_fmac_f64_e32 v[52:53], s[18:19], v[36:37]
	v_add_f64 v[62:63], v[62:63], v[68:69]
	v_fma_f64 v[68:69], s[18:19], v[38:39], v[64:65]
	v_add_f64 v[52:53], v[52:53], v[66:67]
	v_fma_f64 v[64:65], v[38:39], s[18:19], -v[64:65]
	v_mul_f64 v[66:67], v[40:41], s[24:25]
	v_add_f64 v[68:69], v[68:69], v[72:73]
	v_add_f64 v[64:65], v[64:65], v[70:71]
	v_fma_f64 v[70:71], v[36:37], s[6:7], -v[66:67]
	v_mul_f64 v[72:73], v[26:27], s[24:25]
	v_add_f64 v[70:71], v[70:71], v[76:77]
	v_fma_f64 v[76:77], s[6:7], v[38:39], v[72:73]
	v_fma_f64 v[72:73], v[38:39], s[6:7], -v[72:73]
	v_mul_f64 v[26:27], v[26:27], s[22:23]
	v_add_f64 v[72:73], v[72:73], v[78:79]
	v_fma_f64 v[78:79], s[2:3], v[38:39], v[26:27]
	v_fma_f64 v[26:27], v[38:39], s[2:3], -v[26:27]
	v_fmac_f64_e32 v[66:67], s[6:7], v[36:37]
	v_mul_f64 v[40:41], v[40:41], s[22:23]
	v_add_f64 v[26:27], v[26:27], v[34:35]
	v_add_f64 v[34:35], v[20:21], v[24:25]
	v_add_f64 v[20:21], v[20:21], -v[24:25]
	v_add_f64 v[24:25], v[96:97], -v[32:33]
	v_add_f64 v[66:67], v[66:67], v[74:75]
	v_fma_f64 v[74:75], v[36:37], s[2:3], -v[40:41]
	v_fmac_f64_e32 v[40:41], s[2:3], v[36:37]
	v_add_f64 v[36:37], v[96:97], v[32:33]
	v_mul_f64 v[32:33], v[24:25], s[10:11]
	v_fma_f64 v[38:39], v[34:35], s[6:7], -v[32:33]
	v_add_f64 v[22:23], v[38:39], v[22:23]
	v_mul_f64 v[38:39], v[20:21], s[10:11]
	v_fmac_f64_e32 v[32:33], s[6:7], v[34:35]
	v_add_f64 v[30:31], v[40:41], v[30:31]
	v_fma_f64 v[40:41], s[6:7], v[36:37], v[38:39]
	v_add_f64 v[28:29], v[32:33], v[28:29]
	v_fma_f64 v[32:33], v[36:37], s[6:7], -v[38:39]
	v_mul_f64 v[38:39], v[24:25], s[26:27]
	v_add_f64 v[40:41], v[40:41], v[44:45]
	v_add_f64 v[32:33], v[32:33], v[42:43]
	v_fma_f64 v[42:43], v[34:35], s[18:19], -v[38:39]
	v_mul_f64 v[44:45], v[20:21], s[26:27]
	v_fmac_f64_e32 v[38:39], s[18:19], v[34:35]
	s_mov_b32 s9, 0x3fed1bb4
	v_add_f64 v[42:43], v[42:43], v[48:49]
	v_fma_f64 v[48:49], s[18:19], v[36:37], v[44:45]
	v_add_f64 v[38:39], v[38:39], v[46:47]
	v_fma_f64 v[44:45], v[36:37], s[18:19], -v[44:45]
	v_mul_f64 v[46:47], v[24:25], s[8:9]
	v_add_f64 v[48:49], v[48:49], v[54:55]
	v_add_f64 v[44:45], v[44:45], v[50:51]
	v_fma_f64 v[50:51], v[34:35], s[4:5], -v[46:47]
	v_mul_f64 v[54:55], v[20:21], s[8:9]
	v_fmac_f64_e32 v[46:47], s[4:5], v[34:35]
	v_add_f64 v[50:51], v[50:51], v[62:63]
	v_fma_f64 v[62:63], s[4:5], v[36:37], v[54:55]
	v_add_f64 v[46:47], v[46:47], v[52:53]
	v_fma_f64 v[52:53], v[36:37], s[4:5], -v[54:55]
	v_mul_f64 v[54:55], v[24:25], s[12:13]
	v_add_f64 v[62:63], v[62:63], v[68:69]
	v_add_f64 v[52:53], v[52:53], v[64:65]
	v_fma_f64 v[64:65], v[34:35], s[2:3], -v[54:55]
	v_mul_f64 v[68:69], v[20:21], s[12:13]
	v_fmac_f64_e32 v[54:55], s[2:3], v[34:35]
	v_mul_f64 v[24:25], v[24:25], s[16:17]
	v_add_f64 v[64:65], v[64:65], v[70:71]
	v_fma_f64 v[70:71], s[2:3], v[36:37], v[68:69]
	v_add_f64 v[54:55], v[54:55], v[66:67]
	v_fma_f64 v[66:67], v[36:37], s[2:3], -v[68:69]
	v_fma_f64 v[68:69], v[34:35], s[14:15], -v[24:25]
	v_mul_f64 v[20:21], v[20:21], s[16:17]
	v_fmac_f64_e32 v[24:25], s[14:15], v[34:35]
	v_add_f64 v[66:67], v[66:67], v[72:73]
	v_fma_f64 v[72:73], s[14:15], v[36:37], v[20:21]
	v_add_f64 v[24:25], v[24:25], v[30:31]
	v_fma_f64 v[20:21], v[36:37], s[14:15], -v[20:21]
	v_add_f64 v[30:31], v[12:13], v[14:15]
	v_add_f64 v[12:13], v[12:13], -v[14:15]
	v_add_f64 v[20:21], v[20:21], v[26:27]
	v_add_f64 v[26:27], v[16:17], v[18:19]
	v_mul_f64 v[14:15], v[12:13], s[16:17]
	v_add_f64 v[16:17], v[16:17], -v[18:19]
	v_fma_f64 v[18:19], v[26:27], s[14:15], -v[14:15]
	v_add_f64 v[18:19], v[18:19], v[22:23]
	v_mul_f64 v[22:23], v[16:17], s[16:17]
	v_fmac_f64_e32 v[14:15], s[14:15], v[26:27]
	v_fma_f64 v[34:35], s[14:15], v[30:31], v[22:23]
	v_add_f64 v[14:15], v[14:15], v[28:29]
	v_fma_f64 v[22:23], v[30:31], s[14:15], -v[22:23]
	v_mul_f64 v[28:29], v[12:13], s[24:25]
	v_mul_f64 v[36:37], v[16:17], s[24:25]
	v_add_f64 v[34:35], v[34:35], v[40:41]
	v_add_f64 v[22:23], v[22:23], v[32:33]
	v_fma_f64 v[32:33], v[26:27], s[6:7], -v[28:29]
	v_fma_f64 v[40:41], s[6:7], v[30:31], v[36:37]
	v_fmac_f64_e32 v[28:29], s[6:7], v[26:27]
	v_fma_f64 v[36:37], v[30:31], s[6:7], -v[36:37]
	v_add_f64 v[28:29], v[28:29], v[38:39]
	v_add_f64 v[36:37], v[36:37], v[44:45]
	v_mul_f64 v[38:39], v[12:13], s[12:13]
	v_mul_f64 v[44:45], v[16:17], s[12:13]
	v_add_f64 v[32:33], v[32:33], v[42:43]
	v_add_f64 v[40:41], v[40:41], v[48:49]
	v_fma_f64 v[42:43], v[26:27], s[2:3], -v[38:39]
	v_fma_f64 v[48:49], s[2:3], v[30:31], v[44:45]
	v_fmac_f64_e32 v[38:39], s[2:3], v[26:27]
	v_fma_f64 v[44:45], v[30:31], s[2:3], -v[44:45]
	v_add_f64 v[76:77], v[76:77], v[80:81]
	v_add_f64 v[38:39], v[38:39], v[46:47]
	;; [unrolled: 1-line block ×3, first 2 shown]
	v_mul_f64 v[46:47], v[12:13], s[20:21]
	v_mul_f64 v[52:53], v[16:17], s[20:21]
	v_add_f64 v[74:75], v[74:75], v[82:83]
	v_add_f64 v[78:79], v[78:79], v[84:85]
	;; [unrolled: 1-line block ×5, first 2 shown]
	v_fma_f64 v[50:51], v[26:27], s[18:19], -v[46:47]
	v_fma_f64 v[62:63], s[18:19], v[30:31], v[52:53]
	v_mul_f64 v[16:17], v[16:17], s[8:9]
	v_add_f64 v[76:77], v[4:5], -v[6:7]
	v_add_f64 v[68:69], v[68:69], v[74:75]
	v_add_f64 v[72:73], v[72:73], v[78:79]
	;; [unrolled: 1-line block ×4, first 2 shown]
	v_fmac_f64_e32 v[46:47], s[18:19], v[26:27]
	v_mul_f64 v[12:13], v[12:13], s[8:9]
	v_fma_f64 v[64:65], s[4:5], v[30:31], v[16:17]
	v_add_f64 v[70:71], v[8:9], v[10:11]
	v_add_f64 v[74:75], v[8:9], -v[10:11]
	v_mul_f64 v[8:9], v[76:77], s[20:21]
	v_add_f64 v[46:47], v[46:47], v[54:55]
	v_fma_f64 v[52:53], v[30:31], s[18:19], -v[52:53]
	v_fma_f64 v[54:55], v[26:27], s[4:5], -v[12:13]
	v_add_f64 v[64:65], v[64:65], v[72:73]
	v_fmac_f64_e32 v[12:13], s[4:5], v[26:27]
	v_add_f64 v[72:73], v[4:5], v[6:7]
	v_fma_f64 v[4:5], v[70:71], s[18:19], -v[8:9]
	v_add_f64 v[52:53], v[52:53], v[66:67]
	v_add_f64 v[66:67], v[12:13], v[24:25]
	v_fma_f64 v[12:13], v[30:31], s[4:5], -v[16:17]
	v_add_f64 v[4:5], v[4:5], v[18:19]
	v_mul_f64 v[10:11], v[74:75], s[20:21]
	v_fmac_f64_e32 v[8:9], s[18:19], v[70:71]
	v_mul_f64 v[16:17], v[76:77], s[22:23]
	v_mul_f64 v[18:19], v[74:75], s[22:23]
	;; [unrolled: 1-line block ×3, first 2 shown]
	v_add_f64 v[54:55], v[54:55], v[68:69]
	v_add_f64 v[68:69], v[12:13], v[20:21]
	v_fma_f64 v[6:7], s[18:19], v[72:73], v[10:11]
	v_add_f64 v[8:9], v[8:9], v[14:15]
	v_fma_f64 v[12:13], v[70:71], s[2:3], -v[16:17]
	v_fma_f64 v[14:15], s[2:3], v[72:73], v[18:19]
	v_fma_f64 v[20:21], v[70:71], s[14:15], -v[24:25]
	v_add_f64 v[6:7], v[6:7], v[34:35]
	v_fma_f64 v[10:11], v[72:73], s[18:19], -v[10:11]
	v_add_f64 v[12:13], v[12:13], v[32:33]
	v_add_f64 v[14:15], v[14:15], v[40:41]
	v_fmac_f64_e32 v[16:17], s[2:3], v[70:71]
	v_fma_f64 v[18:19], v[72:73], s[2:3], -v[18:19]
	v_add_f64 v[20:21], v[20:21], v[42:43]
	v_mul_f64 v[26:27], v[74:75], s[16:17]
	v_fmac_f64_e32 v[24:25], s[14:15], v[70:71]
	v_mul_f64 v[32:33], v[76:77], s[8:9]
	v_mul_f64 v[34:35], v[74:75], s[8:9]
	;; [unrolled: 1-line block ×4, first 2 shown]
	v_add_f64 v[10:11], v[10:11], v[22:23]
	v_add_f64 v[16:17], v[16:17], v[28:29]
	;; [unrolled: 1-line block ×3, first 2 shown]
	v_fma_f64 v[22:23], s[14:15], v[72:73], v[26:27]
	v_add_f64 v[24:25], v[24:25], v[38:39]
	v_fma_f64 v[26:27], v[72:73], s[14:15], -v[26:27]
	v_fma_f64 v[28:29], v[70:71], s[4:5], -v[32:33]
	v_fma_f64 v[30:31], s[4:5], v[72:73], v[34:35]
	v_fmac_f64_e32 v[32:33], s[4:5], v[70:71]
	v_fma_f64 v[34:35], v[72:73], s[4:5], -v[34:35]
	v_fma_f64 v[36:37], v[70:71], s[6:7], -v[40:41]
	v_fma_f64 v[38:39], s[6:7], v[72:73], v[42:43]
	v_fmac_f64_e32 v[40:41], s[6:7], v[70:71]
	v_fma_f64 v[42:43], v[72:73], s[6:7], -v[42:43]
	v_add_f64 v[22:23], v[22:23], v[48:49]
	v_add_f64 v[26:27], v[26:27], v[44:45]
	;; [unrolled: 1-line block ×10, first 2 shown]
	ds_write_b128 v60, v[0:3]
	ds_write_b128 v60, v[4:7] offset:768
	ds_write_b128 v60, v[12:15] offset:1536
	;; [unrolled: 1-line block ×10, first 2 shown]
	s_waitcnt lgkmcnt(0)
	; wave barrier
	s_waitcnt lgkmcnt(0)
	s_and_saveexec_b64 s[2:3], s[0:1]
	s_cbranch_execz .LBB0_31
; %bb.30:
	v_lshl_add_u32 v12, v56, 4, 0
	ds_read_b128 v[0:3], v12
	ds_read_b128 v[4:7], v12 offset:768
	v_mov_b32_e32 v57, 0
	v_add_u32_e32 v8, 48, v56
	v_lshl_add_u64 v[10:11], v[56:57], 4, v[58:59]
	v_mov_b32_e32 v9, v57
	s_waitcnt lgkmcnt(1)
	global_store_dwordx4 v[10:11], v[0:3], off
	s_nop 1
	v_lshl_add_u64 v[0:1], v[8:9], 4, v[58:59]
	s_waitcnt lgkmcnt(0)
	global_store_dwordx4 v[0:1], v[4:7], off
	ds_read_b128 v[0:3], v12 offset:1536
	s_nop 0
	v_add_u32_e32 v4, 0x60, v56
	v_mov_b32_e32 v5, v57
	v_lshl_add_u64 v[8:9], v[4:5], 4, v[58:59]
	ds_read_b128 v[4:7], v12 offset:2304
	s_waitcnt lgkmcnt(1)
	global_store_dwordx4 v[8:9], v[0:3], off
	s_nop 1
	v_add_u32_e32 v0, 0x90, v56
	v_mov_b32_e32 v1, v57
	v_lshl_add_u64 v[0:1], v[0:1], 4, v[58:59]
	s_waitcnt lgkmcnt(0)
	global_store_dwordx4 v[0:1], v[4:7], off
	ds_read_b128 v[0:3], v12 offset:3072
	s_nop 0
	v_add_u32_e32 v4, 0xc0, v56
	v_mov_b32_e32 v5, v57
	v_lshl_add_u64 v[8:9], v[4:5], 4, v[58:59]
	ds_read_b128 v[4:7], v12 offset:3840
	s_waitcnt lgkmcnt(1)
	global_store_dwordx4 v[8:9], v[0:3], off
	s_nop 1
	v_add_u32_e32 v0, 0xf0, v56
	v_mov_b32_e32 v1, v57
	;; [unrolled: 14-line block ×3, first 2 shown]
	v_lshl_add_u64 v[0:1], v[0:1], 4, v[58:59]
	s_waitcnt lgkmcnt(0)
	global_store_dwordx4 v[0:1], v[4:7], off
	ds_read_b128 v[0:3], v12 offset:6144
	s_nop 0
	v_add_u32_e32 v4, 0x180, v56
	v_mov_b32_e32 v5, v57
	v_lshl_add_u64 v[8:9], v[4:5], 4, v[58:59]
	ds_read_b128 v[4:7], v12 offset:6912
	s_waitcnt lgkmcnt(1)
	global_store_dwordx4 v[8:9], v[0:3], off
	ds_read_b128 v[0:3], v12 offset:7680
	v_add_u32_e32 v8, 0x1b0, v56
	v_mov_b32_e32 v9, v57
	v_lshl_add_u64 v[8:9], v[8:9], 4, v[58:59]
	v_add_u32_e32 v56, 0x1e0, v56
	s_waitcnt lgkmcnt(1)
	global_store_dwordx4 v[8:9], v[4:7], off
	s_nop 1
	v_lshl_add_u64 v[4:5], v[56:57], 4, v[58:59]
	s_waitcnt lgkmcnt(0)
	global_store_dwordx4 v[4:5], v[0:3], off
.LBB0_31:
	s_endpgm
	.section	.rodata,"a",@progbits
	.p2align	6, 0x0
	.amdhsa_kernel fft_rtc_fwd_len528_factors_4_4_3_11_wgs_48_tpt_48_halfLds_dp_ip_CI_unitstride_sbrr_C2R_dirReg
		.amdhsa_group_segment_fixed_size 0
		.amdhsa_private_segment_fixed_size 0
		.amdhsa_kernarg_size 88
		.amdhsa_user_sgpr_count 2
		.amdhsa_user_sgpr_dispatch_ptr 0
		.amdhsa_user_sgpr_queue_ptr 0
		.amdhsa_user_sgpr_kernarg_segment_ptr 1
		.amdhsa_user_sgpr_dispatch_id 0
		.amdhsa_user_sgpr_kernarg_preload_length 0
		.amdhsa_user_sgpr_kernarg_preload_offset 0
		.amdhsa_user_sgpr_private_segment_size 0
		.amdhsa_uses_dynamic_stack 0
		.amdhsa_enable_private_segment 0
		.amdhsa_system_sgpr_workgroup_id_x 1
		.amdhsa_system_sgpr_workgroup_id_y 0
		.amdhsa_system_sgpr_workgroup_id_z 0
		.amdhsa_system_sgpr_workgroup_info 0
		.amdhsa_system_vgpr_workitem_id 0
		.amdhsa_next_free_vgpr 98
		.amdhsa_next_free_sgpr 28
		.amdhsa_accum_offset 100
		.amdhsa_reserve_vcc 1
		.amdhsa_float_round_mode_32 0
		.amdhsa_float_round_mode_16_64 0
		.amdhsa_float_denorm_mode_32 3
		.amdhsa_float_denorm_mode_16_64 3
		.amdhsa_dx10_clamp 1
		.amdhsa_ieee_mode 1
		.amdhsa_fp16_overflow 0
		.amdhsa_tg_split 0
		.amdhsa_exception_fp_ieee_invalid_op 0
		.amdhsa_exception_fp_denorm_src 0
		.amdhsa_exception_fp_ieee_div_zero 0
		.amdhsa_exception_fp_ieee_overflow 0
		.amdhsa_exception_fp_ieee_underflow 0
		.amdhsa_exception_fp_ieee_inexact 0
		.amdhsa_exception_int_div_zero 0
	.end_amdhsa_kernel
	.text
.Lfunc_end0:
	.size	fft_rtc_fwd_len528_factors_4_4_3_11_wgs_48_tpt_48_halfLds_dp_ip_CI_unitstride_sbrr_C2R_dirReg, .Lfunc_end0-fft_rtc_fwd_len528_factors_4_4_3_11_wgs_48_tpt_48_halfLds_dp_ip_CI_unitstride_sbrr_C2R_dirReg
                                        ; -- End function
	.section	.AMDGPU.csdata,"",@progbits
; Kernel info:
; codeLenInByte = 8652
; NumSgprs: 34
; NumVgprs: 98
; NumAgprs: 0
; TotalNumVgprs: 98
; ScratchSize: 0
; MemoryBound: 0
; FloatMode: 240
; IeeeMode: 1
; LDSByteSize: 0 bytes/workgroup (compile time only)
; SGPRBlocks: 4
; VGPRBlocks: 12
; NumSGPRsForWavesPerEU: 34
; NumVGPRsForWavesPerEU: 98
; AccumOffset: 100
; Occupancy: 4
; WaveLimiterHint : 1
; COMPUTE_PGM_RSRC2:SCRATCH_EN: 0
; COMPUTE_PGM_RSRC2:USER_SGPR: 2
; COMPUTE_PGM_RSRC2:TRAP_HANDLER: 0
; COMPUTE_PGM_RSRC2:TGID_X_EN: 1
; COMPUTE_PGM_RSRC2:TGID_Y_EN: 0
; COMPUTE_PGM_RSRC2:TGID_Z_EN: 0
; COMPUTE_PGM_RSRC2:TIDIG_COMP_CNT: 0
; COMPUTE_PGM_RSRC3_GFX90A:ACCUM_OFFSET: 24
; COMPUTE_PGM_RSRC3_GFX90A:TG_SPLIT: 0
	.text
	.p2alignl 6, 3212836864
	.fill 256, 4, 3212836864
	.type	__hip_cuid_35c748d09dcba351,@object ; @__hip_cuid_35c748d09dcba351
	.section	.bss,"aw",@nobits
	.globl	__hip_cuid_35c748d09dcba351
__hip_cuid_35c748d09dcba351:
	.byte	0                               ; 0x0
	.size	__hip_cuid_35c748d09dcba351, 1

	.ident	"AMD clang version 19.0.0git (https://github.com/RadeonOpenCompute/llvm-project roc-6.4.0 25133 c7fe45cf4b819c5991fe208aaa96edf142730f1d)"
	.section	".note.GNU-stack","",@progbits
	.addrsig
	.addrsig_sym __hip_cuid_35c748d09dcba351
	.amdgpu_metadata
---
amdhsa.kernels:
  - .agpr_count:     0
    .args:
      - .actual_access:  read_only
        .address_space:  global
        .offset:         0
        .size:           8
        .value_kind:     global_buffer
      - .offset:         8
        .size:           8
        .value_kind:     by_value
      - .actual_access:  read_only
        .address_space:  global
        .offset:         16
        .size:           8
        .value_kind:     global_buffer
      - .actual_access:  read_only
        .address_space:  global
        .offset:         24
        .size:           8
        .value_kind:     global_buffer
      - .offset:         32
        .size:           8
        .value_kind:     by_value
      - .actual_access:  read_only
        .address_space:  global
        .offset:         40
        .size:           8
        .value_kind:     global_buffer
      - .actual_access:  read_only
        .address_space:  global
        .offset:         48
        .size:           8
        .value_kind:     global_buffer
      - .offset:         56
        .size:           4
        .value_kind:     by_value
      - .actual_access:  read_only
        .address_space:  global
        .offset:         64
        .size:           8
        .value_kind:     global_buffer
      - .actual_access:  read_only
        .address_space:  global
        .offset:         72
        .size:           8
        .value_kind:     global_buffer
      - .address_space:  global
        .offset:         80
        .size:           8
        .value_kind:     global_buffer
    .group_segment_fixed_size: 0
    .kernarg_segment_align: 8
    .kernarg_segment_size: 88
    .language:       OpenCL C
    .language_version:
      - 2
      - 0
    .max_flat_workgroup_size: 48
    .name:           fft_rtc_fwd_len528_factors_4_4_3_11_wgs_48_tpt_48_halfLds_dp_ip_CI_unitstride_sbrr_C2R_dirReg
    .private_segment_fixed_size: 0
    .sgpr_count:     34
    .sgpr_spill_count: 0
    .symbol:         fft_rtc_fwd_len528_factors_4_4_3_11_wgs_48_tpt_48_halfLds_dp_ip_CI_unitstride_sbrr_C2R_dirReg.kd
    .uniform_work_group_size: 1
    .uses_dynamic_stack: false
    .vgpr_count:     98
    .vgpr_spill_count: 0
    .wavefront_size: 64
amdhsa.target:   amdgcn-amd-amdhsa--gfx950
amdhsa.version:
  - 1
  - 2
...

	.end_amdgpu_metadata
